;; amdgpu-corpus repo=ROCm/rocFFT kind=compiled arch=gfx906 opt=O3
	.text
	.amdgcn_target "amdgcn-amd-amdhsa--gfx906"
	.amdhsa_code_object_version 6
	.protected	bluestein_single_back_len324_dim1_dp_op_CI_CI ; -- Begin function bluestein_single_back_len324_dim1_dp_op_CI_CI
	.globl	bluestein_single_back_len324_dim1_dp_op_CI_CI
	.p2align	8
	.type	bluestein_single_back_len324_dim1_dp_op_CI_CI,@function
bluestein_single_back_len324_dim1_dp_op_CI_CI: ; @bluestein_single_back_len324_dim1_dp_op_CI_CI
; %bb.0:
	s_load_dwordx4 s[16:19], s[4:5], 0x28
	v_mul_u32_u24_e32 v1, 0x4be, v0
	v_add_u32_sdwa v80, s6, v1 dst_sel:DWORD dst_unused:UNUSED_PAD src0_sel:DWORD src1_sel:WORD_1
	v_mov_b32_e32 v81, 0
	s_waitcnt lgkmcnt(0)
	v_cmp_gt_u64_e32 vcc, s[16:17], v[80:81]
	s_and_saveexec_b64 s[0:1], vcc
	s_cbranch_execz .LBB0_2
; %bb.1:
	s_load_dwordx4 s[0:3], s[4:5], 0x18
	s_load_dwordx4 s[8:11], s[4:5], 0x0
	v_mov_b32_e32 v2, 54
	v_mul_lo_u16_sdwa v1, v1, v2 dst_sel:DWORD dst_unused:UNUSED_PAD src0_sel:WORD_1 src1_sel:DWORD
	v_sub_u16_e32 v85, v0, v1
	s_waitcnt lgkmcnt(0)
	s_load_dwordx4 s[12:15], s[0:1], 0x0
	v_lshlrev_b32_e32 v83, 4, v85
	v_mov_b32_e32 v84, 0xfffff5e0
	s_load_dwordx2 s[4:5], s[4:5], 0x38
	s_waitcnt lgkmcnt(0)
	v_mad_u64_u32 v[0:1], s[0:1], s14, v80, 0
	v_mad_u64_u32 v[2:3], s[0:1], s12, v85, 0
	s_mul_i32 s7, s12, 0x6c0
	v_mad_u64_u32 v[4:5], s[0:1], s15, v80, v[1:2]
	v_mad_u64_u32 v[5:6], s[0:1], s13, v85, v[3:4]
	v_mov_b32_e32 v1, v4
	v_lshlrev_b64 v[0:1], 4, v[0:1]
	v_mov_b32_e32 v6, s19
	v_mov_b32_e32 v3, v5
	v_add_co_u32_e32 v4, vcc, s18, v0
	v_addc_co_u32_e32 v5, vcc, v6, v1, vcc
	v_lshlrev_b64 v[0:1], 4, v[2:3]
	s_mul_i32 s0, s13, 0x6c0
	v_add_co_u32_e32 v4, vcc, v4, v0
	v_addc_co_u32_e32 v5, vcc, v5, v1, vcc
	v_add_co_u32_e32 v87, vcc, s8, v83
	v_mov_b32_e32 v0, s9
	s_mul_hi_u32 s1, s12, 0x6c0
	v_addc_co_u32_e32 v88, vcc, 0, v0, vcc
	s_add_i32 s6, s1, s0
	global_load_dwordx4 v[24:27], v[4:5], off
	v_add_co_u32_e32 v8, vcc, s7, v4
	v_mov_b32_e32 v4, s6
	v_addc_co_u32_e32 v9, vcc, v5, v4, vcc
	global_load_dwordx4 v[0:3], v83, s[8:9]
	global_load_dwordx4 v[28:31], v[8:9], off
	global_load_dwordx4 v[4:7], v83, s[8:9] offset:1728
	v_add_co_u32_e32 v8, vcc, s7, v8
	v_mov_b32_e32 v10, s6
	v_addc_co_u32_e32 v9, vcc, v9, v10, vcc
	v_mad_u64_u32 v[16:17], s[0:1], s12, v84, v[8:9]
	s_mul_i32 s0, s13, 0xfffff5e0
	global_load_dwordx4 v[32:35], v[8:9], off
	s_sub_i32 s0, s0, s12
	global_load_dwordx4 v[8:11], v83, s[8:9] offset:3456
	v_add_u32_e32 v17, s0, v17
	global_load_dwordx4 v[36:39], v[16:17], off
	global_load_dwordx4 v[12:15], v83, s[8:9] offset:864
	v_add_co_u32_e32 v20, vcc, s7, v16
	v_mov_b32_e32 v16, s6
	v_addc_co_u32_e32 v21, vcc, v17, v16, vcc
	global_load_dwordx4 v[40:43], v[20:21], off
	global_load_dwordx4 v[16:19], v83, s[8:9] offset:2592
	v_add_co_u32_e32 v48, vcc, s7, v20
	v_mov_b32_e32 v20, s6
	v_addc_co_u32_e32 v49, vcc, v21, v20, vcc
	s_movk_i32 s0, 0x1000
	v_add_co_u32_e32 v81, vcc, s0, v87
	v_addc_co_u32_e32 v82, vcc, 0, v88, vcc
	global_load_dwordx4 v[20:23], v[81:82], off offset:224
	global_load_dwordx4 v[44:47], v[48:49], off
	s_load_dwordx4 s[0:3], s[2:3], 0x0
	s_mov_b32 s6, 0xe8584caa
	s_mov_b32 s7, 0x3febb67a
	;; [unrolled: 1-line block ×4, first 2 shown]
	s_movk_i32 s12, 0xab
	s_waitcnt vmcnt(10)
	v_mul_f64 v[48:49], v[26:27], v[2:3]
	s_waitcnt vmcnt(8)
	v_mul_f64 v[52:53], v[30:31], v[6:7]
	v_mul_f64 v[50:51], v[24:25], v[2:3]
	;; [unrolled: 1-line block ×3, first 2 shown]
	v_fma_f64 v[24:25], v[24:25], v[0:1], v[48:49]
	v_fma_f64 v[48:49], v[28:29], v[4:5], v[52:53]
	v_fma_f64 v[26:27], v[26:27], v[0:1], -v[50:51]
	v_fma_f64 v[50:51], v[30:31], v[4:5], -v[54:55]
	s_waitcnt vmcnt(6)
	v_mul_f64 v[56:57], v[34:35], v[10:11]
	v_mul_f64 v[58:59], v[32:33], v[10:11]
	s_waitcnt vmcnt(4)
	v_mul_f64 v[60:61], v[38:39], v[14:15]
	v_mul_f64 v[62:63], v[36:37], v[14:15]
	v_add_u32_e32 v28, 54, v85
	s_waitcnt vmcnt(2)
	v_mul_f64 v[64:65], v[42:43], v[18:19]
	v_mul_f64 v[52:53], v[40:41], v[18:19]
	v_fma_f64 v[29:30], v[32:33], v[8:9], v[56:57]
	v_fma_f64 v[31:32], v[34:35], v[8:9], -v[58:59]
	v_fma_f64 v[33:34], v[36:37], v[12:13], v[60:61]
	v_fma_f64 v[35:36], v[38:39], v[12:13], -v[62:63]
	v_mul_lo_u16_e32 v58, 3, v85
	v_lshlrev_b32_e32 v89, 4, v58
	v_fma_f64 v[37:38], v[40:41], v[16:17], v[64:65]
	v_fma_f64 v[39:40], v[42:43], v[16:17], -v[52:53]
	s_waitcnt vmcnt(0)
	v_mul_f64 v[54:55], v[46:47], v[22:23]
	v_mul_f64 v[56:57], v[44:45], v[22:23]
	v_fma_f64 v[41:42], v[44:45], v[20:21], v[54:55]
	v_fma_f64 v[43:44], v[46:47], v[20:21], -v[56:57]
	ds_write_b128 v83, v[24:27]
	ds_write_b128 v83, v[48:51] offset:1728
	ds_write_b128 v83, v[29:32] offset:3456
	;; [unrolled: 1-line block ×5, first 2 shown]
	s_waitcnt lgkmcnt(0)
	; wave barrier
	s_waitcnt lgkmcnt(0)
	ds_read_b128 v[24:27], v83
	ds_read_b128 v[29:32], v83 offset:1728
	ds_read_b128 v[33:36], v83 offset:3456
	;; [unrolled: 1-line block ×5, first 2 shown]
	s_waitcnt lgkmcnt(4)
	v_add_f64 v[49:50], v[24:25], v[29:30]
	s_waitcnt lgkmcnt(3)
	v_add_f64 v[51:52], v[29:30], v[33:34]
	v_add_f64 v[53:54], v[31:32], v[35:36]
	v_add_f64 v[55:56], v[31:32], -v[35:36]
	v_add_f64 v[31:32], v[26:27], v[31:32]
	v_add_f64 v[57:58], v[29:30], -v[33:34]
	s_waitcnt lgkmcnt(0)
	v_add_f64 v[59:60], v[41:42], v[45:46]
	v_add_f64 v[61:62], v[43:44], v[47:48]
	;; [unrolled: 1-line block ×3, first 2 shown]
	v_fma_f64 v[51:52], v[51:52], -0.5, v[24:25]
	v_fma_f64 v[53:54], v[53:54], -0.5, v[26:27]
	v_add_f64 v[24:25], v[49:50], v[33:34]
	v_add_f64 v[26:27], v[31:32], v[35:36]
	v_add_f64 v[63:64], v[43:44], -v[47:48]
	v_add_f64 v[43:44], v[39:40], v[43:44]
	v_add_f64 v[65:66], v[41:42], -v[45:46]
	v_fma_f64 v[49:50], v[59:60], -0.5, v[37:38]
	v_fma_f64 v[33:34], v[55:56], s[6:7], v[51:52]
	v_fma_f64 v[35:36], v[57:58], s[8:9], v[53:54]
	v_fma_f64 v[59:60], v[61:62], -0.5, v[39:40]
	v_fma_f64 v[37:38], v[55:56], s[8:9], v[51:52]
	v_fma_f64 v[39:40], v[57:58], s[6:7], v[53:54]
	s_waitcnt lgkmcnt(0)
	; wave barrier
	ds_write_b128 v89, v[24:27]
	ds_write_b128 v89, v[33:36] offset:16
	ds_write_b128 v89, v[37:40] offset:32
	v_mul_u32_u24_e32 v24, 3, v28
	v_lshlrev_b32_e32 v90, 4, v24
	v_mul_lo_u16_sdwa v24, v85, s12 dst_sel:DWORD dst_unused:UNUSED_PAD src0_sel:BYTE_0 src1_sel:DWORD
	v_add_f64 v[29:30], v[29:30], v[45:46]
	v_add_f64 v[31:32], v[43:44], v[47:48]
	v_fma_f64 v[45:46], v[63:64], s[8:9], v[49:50]
	v_fma_f64 v[47:48], v[65:66], s[6:7], v[59:60]
	v_lshrrev_b16_e32 v39, 9, v24
	v_fma_f64 v[41:42], v[63:64], s[6:7], v[49:50]
	v_fma_f64 v[43:44], v[65:66], s[8:9], v[59:60]
	v_mul_lo_u16_e32 v24, 3, v39
	v_sub_u16_e32 v24, v85, v24
	v_mov_b32_e32 v38, s11
	v_and_b32_e32 v86, 0xff, v24
	s_movk_i32 s12, 0x50
	v_mov_b32_e32 v37, s10
	v_mad_u64_u32 v[33:34], s[14:15], v86, s12, v[37:38]
	ds_write_b128 v90, v[29:32]
	ds_write_b128 v90, v[41:44] offset:16
	ds_write_b128 v90, v[45:48] offset:32
	s_waitcnt lgkmcnt(0)
	; wave barrier
	s_waitcnt lgkmcnt(0)
	global_load_dwordx4 v[48:51], v[33:34], off
	global_load_dwordx4 v[44:47], v[33:34], off offset:16
	global_load_dwordx4 v[40:43], v[33:34], off offset:32
	ds_read_b128 v[24:27], v83 offset:864
	ds_read_b128 v[29:32], v83 offset:1728
	s_waitcnt vmcnt(2) lgkmcnt(1)
	v_mul_f64 v[52:53], v[24:25], v[50:51]
	s_waitcnt vmcnt(1) lgkmcnt(0)
	v_mul_f64 v[54:55], v[31:32], v[46:47]
	v_mul_f64 v[56:57], v[29:30], v[46:47]
	;; [unrolled: 1-line block ×3, first 2 shown]
	v_fma_f64 v[62:63], v[26:27], v[48:49], v[52:53]
	v_fma_f64 v[64:65], v[29:30], v[44:45], -v[54:55]
	global_load_dwordx4 v[52:55], v[33:34], off offset:48
	v_fma_f64 v[66:67], v[31:32], v[44:45], v[56:57]
	global_load_dwordx4 v[56:59], v[33:34], off offset:64
	v_fma_f64 v[60:61], v[24:25], v[48:49], -v[35:36]
	ds_read_b128 v[24:27], v83 offset:2592
	s_waitcnt vmcnt(2) lgkmcnt(0)
	v_mul_f64 v[35:36], v[26:27], v[42:43]
	v_mul_f64 v[29:30], v[24:25], v[42:43]
	v_fma_f64 v[68:69], v[24:25], v[40:41], -v[35:36]
	v_fma_f64 v[70:71], v[26:27], v[40:41], v[29:30]
	ds_read_b128 v[24:27], v83 offset:3456
	s_waitcnt vmcnt(1) lgkmcnt(0)
	v_mul_f64 v[29:30], v[26:27], v[54:55]
	v_fma_f64 v[72:73], v[24:25], v[52:53], -v[29:30]
	v_mul_f64 v[24:25], v[24:25], v[54:55]
	v_fma_f64 v[74:75], v[26:27], v[52:53], v[24:25]
	ds_read_b128 v[24:27], v83 offset:4320
	s_waitcnt vmcnt(0) lgkmcnt(0)
	v_mul_f64 v[29:30], v[26:27], v[58:59]
	v_fma_f64 v[76:77], v[24:25], v[56:57], -v[29:30]
	v_mul_f64 v[24:25], v[24:25], v[58:59]
	v_fma_f64 v[78:79], v[26:27], v[56:57], v[24:25]
	ds_read_b128 v[24:27], v83
	s_waitcnt lgkmcnt(0)
	; wave barrier
	s_waitcnt lgkmcnt(0)
	v_add_f64 v[29:30], v[24:25], v[64:65]
	v_add_f64 v[33:34], v[29:30], v[72:73]
	;; [unrolled: 1-line block ×9, first 2 shown]
	v_add_f64 v[33:34], v[33:34], -v[91:92]
	v_add_f64 v[91:92], v[64:65], v[72:73]
	v_add_f64 v[64:65], v[64:65], -v[72:73]
	v_add_f64 v[31:32], v[35:36], v[93:94]
	v_add_f64 v[35:36], v[35:36], -v[93:94]
	v_fma_f64 v[92:93], v[91:92], -0.5, v[24:25]
	v_add_f64 v[24:25], v[66:67], v[74:75]
	v_fma_f64 v[94:95], v[24:25], -0.5, v[26:27]
	v_add_f64 v[26:27], v[70:71], v[78:79]
	v_mul_u32_u24_e32 v24, 18, v39
	v_add_lshl_u32 v91, v24, v86, 4
	ds_write_b128 v91, v[29:32]
	ds_write_b128 v91, v[33:36] offset:144
	v_add_f64 v[24:25], v[68:69], v[76:77]
	v_add_f64 v[33:34], v[68:69], -v[76:77]
	v_fma_f64 v[35:36], v[26:27], -0.5, v[62:63]
	v_add_f64 v[62:63], v[66:67], -v[74:75]
	v_add_f64 v[66:67], v[70:71], -v[78:79]
	v_fma_f64 v[70:71], v[64:65], s[8:9], v[94:95]
	v_fma_f64 v[60:61], v[24:25], -0.5, v[60:61]
	v_fma_f64 v[64:65], v[64:65], s[6:7], v[94:95]
	v_fma_f64 v[24:25], v[33:34], s[8:9], v[35:36]
	;; [unrolled: 1-line block ×7, first 2 shown]
	v_mul_f64 v[29:30], v[24:25], s[6:7]
	v_mul_f64 v[35:36], v[60:61], -0.5
	v_fma_f64 v[29:30], v[26:27], 0.5, v[29:30]
	v_mul_f64 v[26:27], v[26:27], s[8:9]
	v_fma_f64 v[66:67], v[33:34], s[6:7], v[35:36]
	v_mul_f64 v[33:34], v[33:34], -0.5
	v_fma_f64 v[31:32], v[24:25], 0.5, v[26:27]
	v_add_f64 v[24:25], v[68:69], v[29:30]
	v_add_f64 v[29:30], v[68:69], -v[29:30]
	v_fma_f64 v[68:69], v[60:61], s[8:9], v[33:34]
	v_add_f64 v[33:34], v[62:63], v[66:67]
	v_add_f64 v[60:61], v[62:63], -v[66:67]
	v_add_f64 v[26:27], v[70:71], v[31:32]
	v_add_f64 v[31:32], v[70:71], -v[31:32]
	;; [unrolled: 2-line block ×3, first 2 shown]
	ds_write_b128 v91, v[24:27] offset:48
	v_mov_b32_e32 v24, 57
	v_mul_lo_u16_sdwa v24, v85, v24 dst_sel:DWORD dst_unused:UNUSED_PAD src0_sel:BYTE_0 src1_sel:DWORD
	v_lshrrev_b16_e32 v39, 10, v24
	v_mul_lo_u16_e32 v24, 18, v39
	v_sub_u16_e32 v24, v85, v24
	v_and_b32_e32 v86, 0xff, v24
	v_mad_u64_u32 v[37:38], s[12:13], v86, s12, v[37:38]
	ds_write_b128 v91, v[33:36] offset:96
	ds_write_b128 v91, v[29:32] offset:192
	ds_write_b128 v91, v[60:63] offset:240
	s_waitcnt lgkmcnt(0)
	; wave barrier
	s_waitcnt lgkmcnt(0)
	global_load_dwordx4 v[60:63], v[37:38], off offset:240
	global_load_dwordx4 v[64:67], v[37:38], off offset:256
	;; [unrolled: 1-line block ×4, first 2 shown]
	ds_read_b128 v[24:27], v83 offset:864
	global_load_dwordx4 v[76:79], v[37:38], off offset:304
	s_waitcnt vmcnt(4) lgkmcnt(0)
	v_mul_f64 v[29:30], v[26:27], v[62:63]
	v_mul_f64 v[31:32], v[24:25], v[62:63]
	v_fma_f64 v[33:34], v[24:25], v[60:61], -v[29:30]
	v_fma_f64 v[35:36], v[26:27], v[60:61], v[31:32]
	ds_read_b128 v[24:27], v83 offset:1728
	s_waitcnt vmcnt(3) lgkmcnt(0)
	v_mul_f64 v[29:30], v[26:27], v[66:67]
	v_fma_f64 v[92:93], v[24:25], v[64:65], -v[29:30]
	v_mul_f64 v[24:25], v[24:25], v[66:67]
	v_fma_f64 v[94:95], v[26:27], v[64:65], v[24:25]
	ds_read_b128 v[24:27], v83 offset:2592
	s_waitcnt vmcnt(2) lgkmcnt(0)
	v_mul_f64 v[29:30], v[26:27], v[70:71]
	v_fma_f64 v[96:97], v[24:25], v[68:69], -v[29:30]
	v_mul_f64 v[24:25], v[24:25], v[70:71]
	;; [unrolled: 6-line block ×4, first 2 shown]
	v_add_f64 v[29:30], v[92:93], v[100:101]
	v_fma_f64 v[104:105], v[26:27], v[76:77], v[24:25]
	ds_read_b128 v[24:27], v83
	s_waitcnt lgkmcnt(0)
	; wave barrier
	s_waitcnt lgkmcnt(0)
	v_fma_f64 v[106:107], v[29:30], -0.5, v[24:25]
	v_add_f64 v[29:30], v[94:95], v[102:103]
	v_add_f64 v[24:25], v[24:25], v[92:93]
	v_fma_f64 v[108:109], v[29:30], -0.5, v[26:27]
	v_add_f64 v[29:30], v[24:25], v[100:101]
	v_add_f64 v[24:25], v[33:34], v[96:97]
	;; [unrolled: 1-line block ×3, first 2 shown]
	v_add_f64 v[100:101], v[92:93], -v[100:101]
	v_add_f64 v[110:111], v[24:25], v[37:38]
	v_add_f64 v[24:25], v[35:36], v[98:99]
	;; [unrolled: 1-line block ×3, first 2 shown]
	v_add_f64 v[102:103], v[94:95], -v[102:103]
	v_add_f64 v[112:113], v[24:25], v[104:105]
	v_add_f64 v[24:25], v[29:30], v[110:111]
	v_add_f64 v[29:30], v[29:30], -v[110:111]
	v_add_f64 v[110:111], v[96:97], v[37:38]
	v_add_f64 v[37:38], v[96:97], -v[37:38]
	;; [unrolled: 2-line block ×4, first 2 shown]
	v_fma_f64 v[112:113], v[100:101], s[8:9], v[108:109]
	v_fma_f64 v[104:105], v[110:111], -0.5, v[33:34]
	v_fma_f64 v[110:111], v[102:103], s[6:7], v[106:107]
	v_fma_f64 v[96:97], v[96:97], -0.5, v[35:36]
	v_fma_f64 v[102:103], v[102:103], s[8:9], v[106:107]
	v_fma_f64 v[35:36], v[98:99], s[6:7], v[104:105]
	;; [unrolled: 1-line block ×6, first 2 shown]
	v_mul_f64 v[96:97], v[98:99], -0.5
	v_mul_f64 v[92:93], v[33:34], s[6:7]
	v_fma_f64 v[100:101], v[37:38], s[6:7], v[96:97]
	v_fma_f64 v[92:93], v[35:36], 0.5, v[92:93]
	v_mul_f64 v[35:36], v[35:36], s[8:9]
	v_mul_f64 v[37:38], v[37:38], -0.5
	v_add_f64 v[96:97], v[102:103], v[100:101]
	v_add_f64 v[100:101], v[102:103], -v[100:101]
	v_fma_f64 v[94:95], v[33:34], 0.5, v[35:36]
	v_fma_f64 v[37:38], v[98:99], s[8:9], v[37:38]
	v_add_f64 v[33:34], v[110:111], v[92:93]
	v_add_f64 v[92:93], v[110:111], -v[92:93]
	v_add_f64 v[35:36], v[112:113], v[94:95]
	v_add_f64 v[98:99], v[104:105], v[37:38]
	v_add_f64 v[94:95], v[112:113], -v[94:95]
	v_add_f64 v[102:103], v[104:105], -v[37:38]
	v_mul_u32_u24_e32 v37, 0x6c, v39
	v_add_lshl_u32 v86, v37, v86, 4
	ds_write_b128 v86, v[24:27]
	ds_write_b128 v86, v[29:32] offset:864
	ds_write_b128 v86, v[33:36] offset:288
	;; [unrolled: 1-line block ×5, first 2 shown]
	v_lshlrev_b32_e32 v31, 5, v85
	s_waitcnt lgkmcnt(0)
	; wave barrier
	s_waitcnt lgkmcnt(0)
	global_load_dwordx4 v[36:39], v31, s[10:11] offset:1680
	ds_read_b128 v[24:27], v83 offset:1728
	v_lshlrev_b32_e32 v94, 5, v28
	s_waitcnt vmcnt(0) lgkmcnt(0)
	v_mul_f64 v[29:30], v[26:27], v[38:39]
	v_fma_f64 v[96:97], v[24:25], v[36:37], -v[29:30]
	v_mul_f64 v[24:25], v[24:25], v[38:39]
	v_fma_f64 v[98:99], v[26:27], v[36:37], v[24:25]
	global_load_dwordx4 v[24:27], v31, s[10:11] offset:1696
	ds_read_b128 v[29:32], v83 offset:3456
	s_waitcnt vmcnt(0) lgkmcnt(0)
	v_mul_f64 v[33:34], v[31:32], v[26:27]
	v_fma_f64 v[100:101], v[29:30], v[24:25], -v[33:34]
	v_mul_f64 v[29:30], v[29:30], v[26:27]
	v_fma_f64 v[102:103], v[31:32], v[24:25], v[29:30]
	global_load_dwordx4 v[28:31], v94, s[10:11] offset:1680
	ds_read_b128 v[32:35], v83 offset:2592
	v_add_f64 v[106:107], v[98:99], v[102:103]
	s_waitcnt vmcnt(0) lgkmcnt(0)
	v_mul_f64 v[92:93], v[34:35], v[30:31]
	v_fma_f64 v[108:109], v[32:33], v[28:29], -v[92:93]
	v_mul_f64 v[32:33], v[32:33], v[30:31]
	v_fma_f64 v[110:111], v[34:35], v[28:29], v[32:33]
	global_load_dwordx4 v[32:35], v94, s[10:11] offset:1696
	ds_read_b128 v[92:95], v83 offset:4320
	s_movk_i32 s10, 0x1440
	s_waitcnt vmcnt(0) lgkmcnt(0)
	v_mul_f64 v[104:105], v[94:95], v[34:35]
	v_fma_f64 v[112:113], v[92:93], v[32:33], -v[104:105]
	v_mul_f64 v[92:93], v[92:93], v[34:35]
	v_add_f64 v[104:105], v[96:97], v[100:101]
	v_add_f64 v[116:117], v[108:109], v[112:113]
	v_fma_f64 v[114:115], v[94:95], v[32:33], v[92:93]
	ds_read_b128 v[92:95], v83
	s_waitcnt lgkmcnt(0)
	v_fma_f64 v[106:107], v[106:107], -0.5, v[94:95]
	v_add_f64 v[94:95], v[94:95], v[98:99]
	v_fma_f64 v[104:105], v[104:105], -0.5, v[92:93]
	v_add_f64 v[92:93], v[92:93], v[96:97]
	v_add_f64 v[98:99], v[98:99], -v[102:103]
	v_add_f64 v[118:119], v[110:111], v[114:115]
	v_add_f64 v[94:95], v[94:95], v[102:103]
	v_add_f64 v[102:103], v[96:97], -v[100:101]
	v_add_f64 v[92:93], v[92:93], v[100:101]
	v_fma_f64 v[96:97], v[98:99], s[6:7], v[104:105]
	v_fma_f64 v[100:101], v[98:99], s[8:9], v[104:105]
	;; [unrolled: 1-line block ×4, first 2 shown]
	ds_read_b128 v[104:107], v83 offset:864
	s_waitcnt lgkmcnt(0)
	v_fma_f64 v[118:119], v[118:119], -0.5, v[106:107]
	v_add_f64 v[106:107], v[106:107], v[110:111]
	v_fma_f64 v[116:117], v[116:117], -0.5, v[104:105]
	v_add_f64 v[104:105], v[104:105], v[108:109]
	v_add_f64 v[110:111], v[110:111], -v[114:115]
	v_add_f64 v[106:107], v[106:107], v[114:115]
	v_add_f64 v[114:115], v[108:109], -v[112:113]
	v_add_f64 v[104:105], v[104:105], v[112:113]
	v_fma_f64 v[108:109], v[110:111], s[6:7], v[116:117]
	v_fma_f64 v[112:113], v[110:111], s[8:9], v[116:117]
	;; [unrolled: 1-line block ×4, first 2 shown]
	ds_write_b128 v83, v[92:95]
	ds_write_b128 v83, v[104:107] offset:864
	ds_write_b128 v83, v[96:99] offset:1728
	;; [unrolled: 1-line block ×5, first 2 shown]
	s_waitcnt lgkmcnt(0)
	; wave barrier
	s_waitcnt lgkmcnt(0)
	global_load_dwordx4 v[92:95], v[81:82], off offset:1088
	ds_read_b128 v[96:99], v83
	ds_read_b128 v[114:117], v83 offset:864
	ds_read_b128 v[102:105], v83 offset:1728
	;; [unrolled: 1-line block ×5, first 2 shown]
	s_waitcnt vmcnt(0) lgkmcnt(5)
	v_mul_f64 v[81:82], v[98:99], v[94:95]
	v_mul_f64 v[100:101], v[96:97], v[94:95]
	v_fma_f64 v[94:95], v[96:97], v[92:93], -v[81:82]
	v_add_co_u32_e32 v81, vcc, s10, v87
	v_addc_co_u32_e32 v82, vcc, 0, v88, vcc
	v_fma_f64 v[96:97], v[98:99], v[92:93], v[100:101]
	global_load_dwordx4 v[98:101], v[81:82], off offset:1728
	s_movk_i32 s10, 0x2000
	s_waitcnt vmcnt(0) lgkmcnt(3)
	v_mul_f64 v[92:93], v[104:105], v[100:101]
	v_mul_f64 v[106:107], v[102:103], v[100:101]
	v_fma_f64 v[100:101], v[102:103], v[98:99], -v[92:93]
	v_fma_f64 v[102:103], v[104:105], v[98:99], v[106:107]
	global_load_dwordx4 v[104:107], v[81:82], off offset:3456
	s_waitcnt vmcnt(0) lgkmcnt(1)
	v_mul_f64 v[92:93], v[110:111], v[106:107]
	v_mul_f64 v[98:99], v[108:109], v[106:107]
	v_fma_f64 v[106:107], v[108:109], v[104:105], -v[92:93]
	v_fma_f64 v[108:109], v[110:111], v[104:105], v[98:99]
	global_load_dwordx4 v[110:113], v[81:82], off offset:864
	s_waitcnt vmcnt(0)
	v_mul_f64 v[92:93], v[116:117], v[112:113]
	v_mul_f64 v[98:99], v[114:115], v[112:113]
	v_fma_f64 v[112:113], v[114:115], v[110:111], -v[92:93]
	v_fma_f64 v[114:115], v[116:117], v[110:111], v[98:99]
	global_load_dwordx4 v[116:119], v[81:82], off offset:2592
	s_waitcnt vmcnt(0)
	v_mul_f64 v[81:82], v[122:123], v[118:119]
	v_mul_f64 v[92:93], v[120:121], v[118:119]
	v_fma_f64 v[118:119], v[120:121], v[116:117], -v[81:82]
	v_add_co_u32_e32 v81, vcc, s10, v87
	v_addc_co_u32_e32 v82, vcc, 0, v88, vcc
	v_fma_f64 v[120:121], v[122:123], v[116:117], v[92:93]
	global_load_dwordx4 v[122:125], v[81:82], off offset:1312
	s_waitcnt vmcnt(0) lgkmcnt(0)
	v_mul_f64 v[81:82], v[128:129], v[124:125]
	v_mul_f64 v[87:88], v[126:127], v[124:125]
	v_fma_f64 v[124:125], v[126:127], v[122:123], -v[81:82]
	v_fma_f64 v[126:127], v[128:129], v[122:123], v[87:88]
	ds_write_b128 v83, v[94:97]
	ds_write_b128 v83, v[100:103] offset:1728
	ds_write_b128 v83, v[106:109] offset:3456
	;; [unrolled: 1-line block ×5, first 2 shown]
	s_waitcnt lgkmcnt(0)
	; wave barrier
	s_waitcnt lgkmcnt(0)
	ds_read_b128 v[92:95], v83
	ds_read_b128 v[96:99], v83 offset:1728
	ds_read_b128 v[100:103], v83 offset:3456
	s_waitcnt lgkmcnt(1)
	v_add_f64 v[81:82], v[92:93], v[96:97]
	v_add_f64 v[87:88], v[94:95], v[98:99]
	s_waitcnt lgkmcnt(0)
	v_add_f64 v[112:113], v[96:97], v[100:101]
	v_add_f64 v[114:115], v[98:99], -v[102:103]
	v_add_f64 v[116:117], v[98:99], v[102:103]
	v_add_f64 v[118:119], v[96:97], -v[100:101]
	v_add_f64 v[96:97], v[81:82], v[100:101]
	v_add_f64 v[98:99], v[87:88], v[102:103]
	ds_read_b128 v[100:103], v83 offset:864
	ds_read_b128 v[104:107], v83 offset:2592
	;; [unrolled: 1-line block ×3, first 2 shown]
	s_waitcnt lgkmcnt(0)
	; wave barrier
	s_waitcnt lgkmcnt(0)
	v_add_f64 v[81:82], v[100:101], v[104:105]
	v_add_f64 v[87:88], v[102:103], v[106:107]
	;; [unrolled: 1-line block ×3, first 2 shown]
	v_add_f64 v[122:123], v[106:107], -v[110:111]
	v_add_f64 v[124:125], v[106:107], v[110:111]
	v_add_f64 v[126:127], v[104:105], -v[108:109]
	v_add_f64 v[104:105], v[81:82], v[108:109]
	v_add_f64 v[106:107], v[87:88], v[110:111]
	v_fma_f64 v[81:82], v[112:113], -0.5, v[92:93]
	v_fma_f64 v[87:88], v[116:117], -0.5, v[94:95]
	v_fma_f64 v[92:93], v[114:115], s[8:9], v[81:82]
	v_fma_f64 v[108:109], v[114:115], s[6:7], v[81:82]
	;; [unrolled: 1-line block ×4, first 2 shown]
	v_fma_f64 v[81:82], v[120:121], -0.5, v[100:101]
	v_fma_f64 v[87:88], v[124:125], -0.5, v[102:103]
	ds_write_b128 v89, v[96:99]
	ds_write_b128 v89, v[92:95] offset:16
	ds_write_b128 v89, v[108:111] offset:32
	v_fma_f64 v[92:93], v[122:123], s[8:9], v[81:82]
	v_fma_f64 v[94:95], v[126:127], s[6:7], v[87:88]
	;; [unrolled: 1-line block ×4, first 2 shown]
	ds_write_b128 v90, v[104:107]
	ds_write_b128 v90, v[92:95] offset:16
	ds_write_b128 v90, v[96:99] offset:32
	s_waitcnt lgkmcnt(0)
	; wave barrier
	s_waitcnt lgkmcnt(0)
	ds_read_b128 v[87:90], v83 offset:864
	s_waitcnt lgkmcnt(0)
	v_mul_f64 v[81:82], v[50:51], v[89:90]
	v_mul_f64 v[50:51], v[50:51], v[87:88]
	v_fma_f64 v[81:82], v[48:49], v[87:88], v[81:82]
	v_fma_f64 v[87:88], v[48:49], v[89:90], -v[50:51]
	ds_read_b128 v[48:51], v83 offset:1728
	s_waitcnt lgkmcnt(0)
	v_mul_f64 v[89:90], v[46:47], v[50:51]
	v_mul_f64 v[46:47], v[46:47], v[48:49]
	v_fma_f64 v[89:90], v[44:45], v[48:49], v[89:90]
	v_fma_f64 v[48:49], v[44:45], v[50:51], -v[46:47]
	;; [unrolled: 6-line block ×3, first 2 shown]
	ds_read_b128 v[40:43], v83 offset:3456
	s_waitcnt lgkmcnt(0)
	v_mul_f64 v[44:45], v[54:55], v[42:43]
	v_fma_f64 v[94:95], v[52:53], v[40:41], v[44:45]
	v_mul_f64 v[40:41], v[54:55], v[40:41]
	v_fma_f64 v[52:53], v[52:53], v[42:43], -v[40:41]
	ds_read_b128 v[40:43], v83 offset:4320
	s_waitcnt lgkmcnt(0)
	v_mul_f64 v[44:45], v[58:59], v[42:43]
	v_add_f64 v[102:103], v[48:49], -v[52:53]
	v_fma_f64 v[54:55], v[56:57], v[40:41], v[44:45]
	v_mul_f64 v[40:41], v[58:59], v[40:41]
	v_add_f64 v[44:45], v[89:90], v[94:95]
	v_fma_f64 v[56:57], v[56:57], v[42:43], -v[40:41]
	ds_read_b128 v[40:43], v83
	s_waitcnt lgkmcnt(0)
	; wave barrier
	s_waitcnt lgkmcnt(0)
	v_fma_f64 v[58:59], v[44:45], -0.5, v[40:41]
	v_add_f64 v[44:45], v[48:49], v[52:53]
	v_add_f64 v[40:41], v[40:41], v[89:90]
	v_add_f64 v[89:90], v[89:90], -v[94:95]
	v_fma_f64 v[96:97], v[44:45], -0.5, v[42:43]
	v_add_f64 v[44:45], v[40:41], v[94:95]
	v_add_f64 v[40:41], v[81:82], v[50:51]
	;; [unrolled: 1-line block ×3, first 2 shown]
	v_fma_f64 v[94:95], v[89:90], s[6:7], v[96:97]
	v_fma_f64 v[89:90], v[89:90], s[8:9], v[96:97]
	v_add_f64 v[98:99], v[40:41], v[54:55]
	v_add_f64 v[40:41], v[87:88], v[92:93]
	;; [unrolled: 1-line block ×5, first 2 shown]
	v_add_f64 v[44:45], v[44:45], -v[98:99]
	v_add_f64 v[98:99], v[50:51], v[54:55]
	v_add_f64 v[42:43], v[46:47], v[100:101]
	v_add_f64 v[46:47], v[46:47], -v[100:101]
	v_add_f64 v[100:101], v[50:51], -v[54:55]
	v_add_f64 v[50:51], v[92:93], v[56:57]
	v_add_f64 v[56:57], v[92:93], -v[56:57]
	v_fma_f64 v[81:82], v[98:99], -0.5, v[81:82]
	v_fma_f64 v[87:88], v[50:51], -0.5, v[87:88]
	v_fma_f64 v[52:53], v[56:57], s[8:9], v[81:82]
	v_fma_f64 v[56:57], v[56:57], s[6:7], v[81:82]
	;; [unrolled: 1-line block ×4, first 2 shown]
	v_mul_f64 v[50:51], v[48:49], s[8:9]
	v_mul_f64 v[48:49], v[48:49], 0.5
	v_mul_f64 v[81:82], v[87:88], -0.5
	v_fma_f64 v[54:55], v[52:53], 0.5, v[50:51]
	v_fma_f64 v[92:93], v[52:53], s[6:7], v[48:49]
	v_fma_f64 v[52:53], v[102:103], s[8:9], v[58:59]
	;; [unrolled: 1-line block ×3, first 2 shown]
	v_add_f64 v[50:51], v[94:95], v[92:93]
	v_add_f64 v[48:49], v[52:53], v[54:55]
	v_add_f64 v[52:53], v[52:53], -v[54:55]
	v_add_f64 v[54:55], v[94:95], -v[92:93]
	v_fma_f64 v[92:93], v[102:103], s[6:7], v[58:59]
	v_mul_f64 v[58:59], v[87:88], s[8:9]
	v_fma_f64 v[87:88], v[56:57], -0.5, v[58:59]
	v_add_f64 v[58:59], v[89:90], v[81:82]
	v_add_f64 v[89:90], v[89:90], -v[81:82]
	v_add_f64 v[56:57], v[92:93], v[87:88]
	v_add_f64 v[87:88], v[92:93], -v[87:88]
	ds_write_b128 v91, v[40:43]
	ds_write_b128 v91, v[44:47] offset:144
	ds_write_b128 v91, v[48:51] offset:48
	;; [unrolled: 1-line block ×5, first 2 shown]
	s_waitcnt lgkmcnt(0)
	; wave barrier
	s_waitcnt lgkmcnt(0)
	ds_read_b128 v[40:43], v83 offset:864
	s_waitcnt lgkmcnt(0)
	v_mul_f64 v[44:45], v[62:63], v[42:43]
	v_fma_f64 v[48:49], v[60:61], v[40:41], v[44:45]
	v_mul_f64 v[40:41], v[62:63], v[40:41]
	v_fma_f64 v[50:51], v[60:61], v[42:43], -v[40:41]
	ds_read_b128 v[40:43], v83 offset:1728
	s_waitcnt lgkmcnt(0)
	v_mul_f64 v[44:45], v[66:67], v[42:43]
	v_fma_f64 v[52:53], v[64:65], v[40:41], v[44:45]
	v_mul_f64 v[40:41], v[66:67], v[40:41]
	v_fma_f64 v[54:55], v[64:65], v[42:43], -v[40:41]
	;; [unrolled: 6-line block ×4, first 2 shown]
	ds_read_b128 v[40:43], v83 offset:4320
	s_waitcnt lgkmcnt(0)
	v_mul_f64 v[44:45], v[78:79], v[42:43]
	v_fma_f64 v[64:65], v[76:77], v[40:41], v[44:45]
	v_mul_f64 v[40:41], v[78:79], v[40:41]
	v_add_f64 v[44:45], v[52:53], v[60:61]
	v_fma_f64 v[66:67], v[76:77], v[42:43], -v[40:41]
	ds_read_b128 v[40:43], v83
	s_waitcnt lgkmcnt(0)
	; wave barrier
	s_waitcnt lgkmcnt(0)
	v_fma_f64 v[68:69], v[44:45], -0.5, v[40:41]
	v_add_f64 v[44:45], v[54:55], v[62:63]
	v_add_f64 v[40:41], v[40:41], v[52:53]
	v_fma_f64 v[70:71], v[44:45], -0.5, v[42:43]
	v_add_f64 v[44:45], v[48:49], v[56:57]
	v_add_f64 v[40:41], v[40:41], v[60:61]
	;; [unrolled: 1-line block ×3, first 2 shown]
	v_add_f64 v[60:61], v[52:53], -v[60:61]
	v_add_f64 v[72:73], v[44:45], v[64:65]
	v_add_f64 v[44:45], v[50:51], v[58:59]
	;; [unrolled: 1-line block ×3, first 2 shown]
	v_add_f64 v[62:63], v[54:55], -v[62:63]
	v_add_f64 v[74:75], v[44:45], v[66:67]
	v_add_f64 v[44:45], v[40:41], v[72:73]
	v_add_f64 v[40:41], v[40:41], -v[72:73]
	v_add_f64 v[72:73], v[56:57], v[64:65]
	v_add_f64 v[56:57], v[56:57], -v[64:65]
	;; [unrolled: 2-line block ×4, first 2 shown]
	v_fma_f64 v[74:75], v[60:61], s[6:7], v[70:71]
	v_fma_f64 v[66:67], v[72:73], -0.5, v[48:49]
	v_fma_f64 v[64:65], v[64:65], -0.5, v[50:51]
	ds_write_b128 v86, v[44:47]
	v_fma_f64 v[52:53], v[58:59], s[8:9], v[66:67]
	v_fma_f64 v[58:59], v[58:59], s[6:7], v[66:67]
	;; [unrolled: 1-line block ×5, first 2 shown]
	v_mul_f64 v[50:51], v[48:49], s[8:9]
	v_mul_f64 v[48:49], v[48:49], 0.5
	v_fma_f64 v[50:51], v[52:53], 0.5, v[50:51]
	v_fma_f64 v[72:73], v[52:53], s[6:7], v[48:49]
	v_fma_f64 v[48:49], v[62:63], s[8:9], v[68:69]
	;; [unrolled: 1-line block ×3, first 2 shown]
	v_mul_f64 v[60:61], v[56:57], s[8:9]
	v_mul_f64 v[56:57], v[56:57], -0.5
	v_add_f64 v[54:55], v[74:75], v[72:73]
	v_add_f64 v[52:53], v[48:49], v[50:51]
	v_add_f64 v[48:49], v[48:49], -v[50:51]
	v_fma_f64 v[66:67], v[58:59], -0.5, v[60:61]
	v_fma_f64 v[58:59], v[58:59], s[6:7], v[56:57]
	v_add_f64 v[50:51], v[74:75], -v[72:73]
	v_add_f64 v[60:61], v[64:65], v[66:67]
	v_add_f64 v[62:63], v[68:69], v[58:59]
	v_add_f64 v[56:57], v[64:65], -v[66:67]
	v_add_f64 v[58:59], v[68:69], -v[58:59]
	ds_write_b128 v86, v[40:43] offset:864
	ds_write_b128 v86, v[52:55] offset:288
	;; [unrolled: 1-line block ×5, first 2 shown]
	s_waitcnt lgkmcnt(0)
	; wave barrier
	s_waitcnt lgkmcnt(0)
	ds_read_b128 v[46:49], v83 offset:1728
	ds_read_b128 v[54:57], v83 offset:2592
	v_mad_u64_u32 v[66:67], s[10:11], s2, v80, 0
	ds_read_b128 v[50:53], v83 offset:3456
	s_waitcnt lgkmcnt(2)
	v_mul_f64 v[42:43], v[38:39], v[48:49]
	v_mul_f64 v[58:59], v[38:39], v[46:47]
	v_mov_b32_e32 v64, v67
	v_mad_u64_u32 v[64:65], s[2:3], s3, v80, v[64:65]
	s_mul_i32 s10, s1, 0x6c0
	s_mul_hi_u32 s11, s0, 0x6c0
	v_mov_b32_e32 v67, v64
	v_fma_f64 v[42:43], v[36:37], v[46:47], v[42:43]
	v_fma_f64 v[36:37], v[36:37], v[48:49], -v[58:59]
	ds_read_b128 v[46:49], v83 offset:4320
	s_waitcnt lgkmcnt(1)
	v_mul_f64 v[60:61], v[26:27], v[52:53]
	v_mul_f64 v[26:27], v[26:27], v[50:51]
	;; [unrolled: 1-line block ×4, first 2 shown]
	s_waitcnt lgkmcnt(0)
	v_mul_f64 v[62:63], v[34:35], v[48:49]
	v_mul_f64 v[34:35], v[34:35], v[46:47]
	v_mad_u64_u32 v[64:65], s[2:3], s0, v85, 0
	v_fma_f64 v[50:51], v[24:25], v[50:51], v[60:61]
	v_fma_f64 v[52:53], v[24:25], v[52:53], -v[26:27]
	v_mad_u64_u32 v[68:69], s[2:3], s1, v85, v[65:66]
	v_fma_f64 v[54:55], v[28:29], v[54:55], v[58:59]
	v_fma_f64 v[56:57], v[28:29], v[56:57], -v[30:31]
	v_fma_f64 v[46:47], v[32:33], v[46:47], v[62:63]
	v_fma_f64 v[32:33], v[32:33], v[48:49], -v[34:35]
	v_lshlrev_b64 v[66:67], 4, v[66:67]
	v_mov_b32_e32 v65, v68
	v_mov_b32_e32 v68, s5
	v_add_co_u32_e32 v66, vcc, s4, v66
	v_lshlrev_b64 v[64:65], 4, v[64:65]
	ds_read_b128 v[24:27], v83
	ds_read_b128 v[28:31], v83 offset:864
	v_addc_co_u32_e32 v67, vcc, v68, v67, vcc
	v_add_co_u32_e32 v64, vcc, v66, v64
	s_mul_i32 s5, s0, 0x6c0
	s_add_i32 s12, s11, s10
	v_addc_co_u32_e32 v65, vcc, v67, v65, vcc
	v_add_f64 v[34:35], v[42:43], v[50:51]
	v_add_f64 v[48:49], v[36:37], v[52:53]
	v_mov_b32_e32 v68, s12
	v_add_co_u32_e32 v44, vcc, s5, v64
	v_addc_co_u32_e32 v45, vcc, v65, v68, vcc
	s_waitcnt lgkmcnt(1)
	v_add_f64 v[58:59], v[24:25], v[42:43]
	v_add_f64 v[61:62], v[36:37], -v[52:53]
	v_add_f64 v[36:37], v[26:27], v[36:37]
	v_add_f64 v[68:69], v[54:55], v[46:47]
	;; [unrolled: 1-line block ×3, first 2 shown]
	v_mov_b32_e32 v66, s12
	v_add_co_u32_e32 v40, vcc, s5, v44
	v_addc_co_u32_e32 v41, vcc, v45, v66, vcc
	s_waitcnt lgkmcnt(0)
	v_add_f64 v[66:67], v[28:29], v[54:55]
	v_add_f64 v[72:73], v[30:31], v[56:57]
	v_add_f64 v[42:43], v[42:43], -v[50:51]
	v_fma_f64 v[34:35], v[34:35], -0.5, v[24:25]
	v_fma_f64 v[48:49], v[48:49], -0.5, v[26:27]
	v_add_f64 v[56:57], v[56:57], -v[32:33]
	v_add_f64 v[74:75], v[54:55], -v[46:47]
	v_add_f64 v[24:25], v[58:59], v[50:51]
	v_add_f64 v[26:27], v[36:37], v[52:53]
	v_fma_f64 v[36:37], v[68:69], -0.5, v[28:29]
	v_fma_f64 v[58:59], v[70:71], -0.5, v[30:31]
	v_add_f64 v[28:29], v[66:67], v[46:47]
	v_add_f64 v[30:31], v[72:73], v[32:33]
	v_fma_f64 v[32:33], v[61:62], s[8:9], v[34:35]
	v_fma_f64 v[46:47], v[61:62], s[6:7], v[34:35]
	;; [unrolled: 1-line block ×8, first 2 shown]
	ds_write_b128 v83, v[24:27]
	ds_write_b128 v83, v[28:31] offset:864
	ds_write_b128 v83, v[32:35] offset:1728
	;; [unrolled: 1-line block ×5, first 2 shown]
	s_waitcnt lgkmcnt(0)
	; wave barrier
	s_waitcnt lgkmcnt(0)
	ds_read_b128 v[24:27], v83
	ds_read_b128 v[28:31], v83 offset:1728
	ds_read_b128 v[32:35], v83 offset:3456
	;; [unrolled: 1-line block ×5, first 2 shown]
	s_mov_b32 s2, 0xfcd6e9e0
	s_waitcnt lgkmcnt(4)
	v_mul_f64 v[58:59], v[6:7], v[30:31]
	v_mul_f64 v[42:43], v[2:3], v[26:27]
	v_mul_f64 v[2:3], v[2:3], v[24:25]
	v_mul_f64 v[6:7], v[6:7], v[28:29]
	s_waitcnt lgkmcnt(3)
	v_mul_f64 v[62:63], v[10:11], v[34:35]
	v_mul_f64 v[10:11], v[10:11], v[32:33]
	s_mov_b32 s3, 0x3f6948b0
	v_mad_u64_u32 v[38:39], s[10:11], s0, v84, v[40:41]
	v_fma_f64 v[24:25], v[0:1], v[24:25], v[42:43]
	v_fma_f64 v[2:3], v[0:1], v[26:27], -v[2:3]
	s_waitcnt lgkmcnt(2)
	v_mul_f64 v[0:1], v[14:15], v[48:49]
	v_mul_f64 v[14:15], v[14:15], v[46:47]
	s_waitcnt lgkmcnt(1)
	v_mul_f64 v[26:27], v[18:19], v[52:53]
	v_mul_f64 v[18:19], v[18:19], v[50:51]
	v_fma_f64 v[28:29], v[4:5], v[28:29], v[58:59]
	v_fma_f64 v[6:7], v[4:5], v[30:31], -v[6:7]
	s_waitcnt lgkmcnt(0)
	v_mul_f64 v[4:5], v[22:23], v[56:57]
	v_mul_f64 v[22:23], v[22:23], v[54:55]
	v_fma_f64 v[30:31], v[8:9], v[32:33], v[62:63]
	v_fma_f64 v[10:11], v[8:9], v[34:35], -v[10:11]
	v_fma_f64 v[32:33], v[12:13], v[46:47], v[0:1]
	v_fma_f64 v[14:15], v[12:13], v[48:49], -v[14:15]
	v_fma_f64 v[26:27], v[16:17], v[50:51], v[26:27]
	v_fma_f64 v[18:19], v[16:17], v[52:53], -v[18:19]
	v_fma_f64 v[34:35], v[20:21], v[54:55], v[4:5]
	v_fma_f64 v[22:23], v[20:21], v[56:57], -v[22:23]
	v_mul_f64 v[0:1], v[24:25], s[2:3]
	v_mul_f64 v[2:3], v[2:3], s[2:3]
	;; [unrolled: 1-line block ×6, first 2 shown]
	s_mulk_i32 s1, 0xf5e0
	v_mul_f64 v[12:13], v[32:33], s[2:3]
	v_mul_f64 v[14:15], v[14:15], s[2:3]
	s_sub_i32 s1, s1, s0
	v_mul_f64 v[16:17], v[26:27], s[2:3]
	v_mul_f64 v[18:19], v[18:19], s[2:3]
	v_mov_b32_e32 v76, s12
	v_add_u32_e32 v39, s1, v39
	v_add_co_u32_e32 v60, vcc, s5, v38
	v_mul_f64 v[20:21], v[34:35], s[2:3]
	v_mul_f64 v[22:23], v[22:23], s[2:3]
	v_addc_co_u32_e32 v61, vcc, v39, v76, vcc
	v_mov_b32_e32 v77, s12
	v_add_co_u32_e32 v36, vcc, s5, v60
	v_addc_co_u32_e32 v37, vcc, v61, v77, vcc
	global_store_dwordx4 v[64:65], v[0:3], off
	global_store_dwordx4 v[44:45], v[4:7], off
	;; [unrolled: 1-line block ×6, first 2 shown]
.LBB0_2:
	s_endpgm
	.section	.rodata,"a",@progbits
	.p2align	6, 0x0
	.amdhsa_kernel bluestein_single_back_len324_dim1_dp_op_CI_CI
		.amdhsa_group_segment_fixed_size 5184
		.amdhsa_private_segment_fixed_size 0
		.amdhsa_kernarg_size 104
		.amdhsa_user_sgpr_count 6
		.amdhsa_user_sgpr_private_segment_buffer 1
		.amdhsa_user_sgpr_dispatch_ptr 0
		.amdhsa_user_sgpr_queue_ptr 0
		.amdhsa_user_sgpr_kernarg_segment_ptr 1
		.amdhsa_user_sgpr_dispatch_id 0
		.amdhsa_user_sgpr_flat_scratch_init 0
		.amdhsa_user_sgpr_private_segment_size 0
		.amdhsa_uses_dynamic_stack 0
		.amdhsa_system_sgpr_private_segment_wavefront_offset 0
		.amdhsa_system_sgpr_workgroup_id_x 1
		.amdhsa_system_sgpr_workgroup_id_y 0
		.amdhsa_system_sgpr_workgroup_id_z 0
		.amdhsa_system_sgpr_workgroup_info 0
		.amdhsa_system_vgpr_workitem_id 0
		.amdhsa_next_free_vgpr 130
		.amdhsa_next_free_sgpr 20
		.amdhsa_reserve_vcc 1
		.amdhsa_reserve_flat_scratch 0
		.amdhsa_float_round_mode_32 0
		.amdhsa_float_round_mode_16_64 0
		.amdhsa_float_denorm_mode_32 3
		.amdhsa_float_denorm_mode_16_64 3
		.amdhsa_dx10_clamp 1
		.amdhsa_ieee_mode 1
		.amdhsa_fp16_overflow 0
		.amdhsa_exception_fp_ieee_invalid_op 0
		.amdhsa_exception_fp_denorm_src 0
		.amdhsa_exception_fp_ieee_div_zero 0
		.amdhsa_exception_fp_ieee_overflow 0
		.amdhsa_exception_fp_ieee_underflow 0
		.amdhsa_exception_fp_ieee_inexact 0
		.amdhsa_exception_int_div_zero 0
	.end_amdhsa_kernel
	.text
.Lfunc_end0:
	.size	bluestein_single_back_len324_dim1_dp_op_CI_CI, .Lfunc_end0-bluestein_single_back_len324_dim1_dp_op_CI_CI
                                        ; -- End function
	.section	.AMDGPU.csdata,"",@progbits
; Kernel info:
; codeLenInByte = 6316
; NumSgprs: 24
; NumVgprs: 130
; ScratchSize: 0
; MemoryBound: 0
; FloatMode: 240
; IeeeMode: 1
; LDSByteSize: 5184 bytes/workgroup (compile time only)
; SGPRBlocks: 2
; VGPRBlocks: 32
; NumSGPRsForWavesPerEU: 24
; NumVGPRsForWavesPerEU: 130
; Occupancy: 1
; WaveLimiterHint : 1
; COMPUTE_PGM_RSRC2:SCRATCH_EN: 0
; COMPUTE_PGM_RSRC2:USER_SGPR: 6
; COMPUTE_PGM_RSRC2:TRAP_HANDLER: 0
; COMPUTE_PGM_RSRC2:TGID_X_EN: 1
; COMPUTE_PGM_RSRC2:TGID_Y_EN: 0
; COMPUTE_PGM_RSRC2:TGID_Z_EN: 0
; COMPUTE_PGM_RSRC2:TIDIG_COMP_CNT: 0
	.type	__hip_cuid_5736196b51e2155f,@object ; @__hip_cuid_5736196b51e2155f
	.section	.bss,"aw",@nobits
	.globl	__hip_cuid_5736196b51e2155f
__hip_cuid_5736196b51e2155f:
	.byte	0                               ; 0x0
	.size	__hip_cuid_5736196b51e2155f, 1

	.ident	"AMD clang version 19.0.0git (https://github.com/RadeonOpenCompute/llvm-project roc-6.4.0 25133 c7fe45cf4b819c5991fe208aaa96edf142730f1d)"
	.section	".note.GNU-stack","",@progbits
	.addrsig
	.addrsig_sym __hip_cuid_5736196b51e2155f
	.amdgpu_metadata
---
amdhsa.kernels:
  - .args:
      - .actual_access:  read_only
        .address_space:  global
        .offset:         0
        .size:           8
        .value_kind:     global_buffer
      - .actual_access:  read_only
        .address_space:  global
        .offset:         8
        .size:           8
        .value_kind:     global_buffer
      - .actual_access:  read_only
        .address_space:  global
        .offset:         16
        .size:           8
        .value_kind:     global_buffer
      - .actual_access:  read_only
        .address_space:  global
        .offset:         24
        .size:           8
        .value_kind:     global_buffer
      - .actual_access:  read_only
        .address_space:  global
        .offset:         32
        .size:           8
        .value_kind:     global_buffer
      - .offset:         40
        .size:           8
        .value_kind:     by_value
      - .address_space:  global
        .offset:         48
        .size:           8
        .value_kind:     global_buffer
      - .address_space:  global
        .offset:         56
        .size:           8
        .value_kind:     global_buffer
      - .address_space:  global
        .offset:         64
        .size:           8
        .value_kind:     global_buffer
      - .address_space:  global
        .offset:         72
        .size:           8
        .value_kind:     global_buffer
      - .offset:         80
        .size:           4
        .value_kind:     by_value
      - .address_space:  global
        .offset:         88
        .size:           8
        .value_kind:     global_buffer
      - .address_space:  global
        .offset:         96
        .size:           8
        .value_kind:     global_buffer
    .group_segment_fixed_size: 5184
    .kernarg_segment_align: 8
    .kernarg_segment_size: 104
    .language:       OpenCL C
    .language_version:
      - 2
      - 0
    .max_flat_workgroup_size: 54
    .name:           bluestein_single_back_len324_dim1_dp_op_CI_CI
    .private_segment_fixed_size: 0
    .sgpr_count:     24
    .sgpr_spill_count: 0
    .symbol:         bluestein_single_back_len324_dim1_dp_op_CI_CI.kd
    .uniform_work_group_size: 1
    .uses_dynamic_stack: false
    .vgpr_count:     130
    .vgpr_spill_count: 0
    .wavefront_size: 64
amdhsa.target:   amdgcn-amd-amdhsa--gfx906
amdhsa.version:
  - 1
  - 2
...

	.end_amdgpu_metadata
